;; amdgpu-corpus repo=ROCm/rocFFT kind=compiled arch=gfx1201 opt=O3
	.text
	.amdgcn_target "amdgcn-amd-amdhsa--gfx1201"
	.amdhsa_code_object_version 6
	.protected	fft_rtc_fwd_len495_factors_11_9_5_wgs_55_tpt_55_sp_ip_CI_unitstride_sbrr_dirReg ; -- Begin function fft_rtc_fwd_len495_factors_11_9_5_wgs_55_tpt_55_sp_ip_CI_unitstride_sbrr_dirReg
	.globl	fft_rtc_fwd_len495_factors_11_9_5_wgs_55_tpt_55_sp_ip_CI_unitstride_sbrr_dirReg
	.p2align	8
	.type	fft_rtc_fwd_len495_factors_11_9_5_wgs_55_tpt_55_sp_ip_CI_unitstride_sbrr_dirReg,@function
fft_rtc_fwd_len495_factors_11_9_5_wgs_55_tpt_55_sp_ip_CI_unitstride_sbrr_dirReg: ; @fft_rtc_fwd_len495_factors_11_9_5_wgs_55_tpt_55_sp_ip_CI_unitstride_sbrr_dirReg
; %bb.0:
	s_clause 0x2
	s_load_b128 s[4:7], s[0:1], 0x0
	s_load_b64 s[8:9], s[0:1], 0x50
	s_load_b64 s[10:11], s[0:1], 0x18
	v_mul_u32_u24_e32 v1, 0x4a8, v0
	v_mov_b32_e32 v3, 0
	s_delay_alu instid0(VALU_DEP_2) | instskip(NEXT) | instid1(VALU_DEP_1)
	v_lshrrev_b32_e32 v1, 16, v1
	v_add_nc_u32_e32 v5, ttmp9, v1
	v_mov_b32_e32 v1, 0
	v_mov_b32_e32 v2, 0
	;; [unrolled: 1-line block ×3, first 2 shown]
	s_wait_kmcnt 0x0
	v_cmp_lt_u64_e64 s2, s[6:7], 2
	s_delay_alu instid0(VALU_DEP_1)
	s_and_b32 vcc_lo, exec_lo, s2
	s_cbranch_vccnz .LBB0_8
; %bb.1:
	s_load_b64 s[2:3], s[0:1], 0x10
	v_mov_b32_e32 v1, 0
	v_mov_b32_e32 v2, 0
	s_add_nc_u64 s[12:13], s[10:11], 8
	s_mov_b64 s[14:15], 1
	s_wait_kmcnt 0x0
	s_add_nc_u64 s[16:17], s[2:3], 8
	s_mov_b32 s3, 0
.LBB0_2:                                ; =>This Inner Loop Header: Depth=1
	s_load_b64 s[18:19], s[16:17], 0x0
                                        ; implicit-def: $vgpr7_vgpr8
	s_mov_b32 s2, exec_lo
	s_wait_kmcnt 0x0
	v_or_b32_e32 v4, s19, v6
	s_delay_alu instid0(VALU_DEP_1)
	v_cmpx_ne_u64_e32 0, v[3:4]
	s_wait_alu 0xfffe
	s_xor_b32 s20, exec_lo, s2
	s_cbranch_execz .LBB0_4
; %bb.3:                                ;   in Loop: Header=BB0_2 Depth=1
	s_cvt_f32_u32 s2, s18
	s_cvt_f32_u32 s21, s19
	s_sub_nc_u64 s[24:25], 0, s[18:19]
	s_wait_alu 0xfffe
	s_delay_alu instid0(SALU_CYCLE_1) | instskip(SKIP_1) | instid1(SALU_CYCLE_2)
	s_fmamk_f32 s2, s21, 0x4f800000, s2
	s_wait_alu 0xfffe
	v_s_rcp_f32 s2, s2
	s_delay_alu instid0(TRANS32_DEP_1) | instskip(SKIP_1) | instid1(SALU_CYCLE_2)
	s_mul_f32 s2, s2, 0x5f7ffffc
	s_wait_alu 0xfffe
	s_mul_f32 s21, s2, 0x2f800000
	s_wait_alu 0xfffe
	s_delay_alu instid0(SALU_CYCLE_2) | instskip(SKIP_1) | instid1(SALU_CYCLE_2)
	s_trunc_f32 s21, s21
	s_wait_alu 0xfffe
	s_fmamk_f32 s2, s21, 0xcf800000, s2
	s_cvt_u32_f32 s23, s21
	s_wait_alu 0xfffe
	s_delay_alu instid0(SALU_CYCLE_1) | instskip(SKIP_1) | instid1(SALU_CYCLE_2)
	s_cvt_u32_f32 s22, s2
	s_wait_alu 0xfffe
	s_mul_u64 s[26:27], s[24:25], s[22:23]
	s_wait_alu 0xfffe
	s_mul_hi_u32 s29, s22, s27
	s_mul_i32 s28, s22, s27
	s_mul_hi_u32 s2, s22, s26
	s_mul_i32 s30, s23, s26
	s_wait_alu 0xfffe
	s_add_nc_u64 s[28:29], s[2:3], s[28:29]
	s_mul_hi_u32 s21, s23, s26
	s_mul_hi_u32 s31, s23, s27
	s_add_co_u32 s2, s28, s30
	s_wait_alu 0xfffe
	s_add_co_ci_u32 s2, s29, s21
	s_mul_i32 s26, s23, s27
	s_add_co_ci_u32 s27, s31, 0
	s_wait_alu 0xfffe
	s_add_nc_u64 s[26:27], s[2:3], s[26:27]
	s_wait_alu 0xfffe
	v_add_co_u32 v4, s2, s22, s26
	s_delay_alu instid0(VALU_DEP_1) | instskip(SKIP_1) | instid1(VALU_DEP_1)
	s_cmp_lg_u32 s2, 0
	s_add_co_ci_u32 s23, s23, s27
	v_readfirstlane_b32 s22, v4
	s_wait_alu 0xfffe
	s_delay_alu instid0(VALU_DEP_1)
	s_mul_u64 s[24:25], s[24:25], s[22:23]
	s_wait_alu 0xfffe
	s_mul_hi_u32 s27, s22, s25
	s_mul_i32 s26, s22, s25
	s_mul_hi_u32 s2, s22, s24
	s_mul_i32 s28, s23, s24
	s_wait_alu 0xfffe
	s_add_nc_u64 s[26:27], s[2:3], s[26:27]
	s_mul_hi_u32 s21, s23, s24
	s_mul_hi_u32 s22, s23, s25
	s_wait_alu 0xfffe
	s_add_co_u32 s2, s26, s28
	s_add_co_ci_u32 s2, s27, s21
	s_mul_i32 s24, s23, s25
	s_add_co_ci_u32 s25, s22, 0
	s_wait_alu 0xfffe
	s_add_nc_u64 s[24:25], s[2:3], s[24:25]
	s_wait_alu 0xfffe
	v_add_co_u32 v4, s2, v4, s24
	s_delay_alu instid0(VALU_DEP_1) | instskip(SKIP_1) | instid1(VALU_DEP_1)
	s_cmp_lg_u32 s2, 0
	s_add_co_ci_u32 s2, s23, s25
	v_mul_hi_u32 v13, v5, v4
	s_wait_alu 0xfffe
	v_mad_co_u64_u32 v[7:8], null, v5, s2, 0
	v_mad_co_u64_u32 v[9:10], null, v6, v4, 0
	;; [unrolled: 1-line block ×3, first 2 shown]
	s_delay_alu instid0(VALU_DEP_3) | instskip(SKIP_1) | instid1(VALU_DEP_4)
	v_add_co_u32 v4, vcc_lo, v13, v7
	s_wait_alu 0xfffd
	v_add_co_ci_u32_e32 v7, vcc_lo, 0, v8, vcc_lo
	s_delay_alu instid0(VALU_DEP_2) | instskip(SKIP_1) | instid1(VALU_DEP_2)
	v_add_co_u32 v4, vcc_lo, v4, v9
	s_wait_alu 0xfffd
	v_add_co_ci_u32_e32 v4, vcc_lo, v7, v10, vcc_lo
	s_wait_alu 0xfffd
	v_add_co_ci_u32_e32 v7, vcc_lo, 0, v12, vcc_lo
	s_delay_alu instid0(VALU_DEP_2) | instskip(SKIP_1) | instid1(VALU_DEP_2)
	v_add_co_u32 v4, vcc_lo, v4, v11
	s_wait_alu 0xfffd
	v_add_co_ci_u32_e32 v9, vcc_lo, 0, v7, vcc_lo
	s_delay_alu instid0(VALU_DEP_2) | instskip(SKIP_1) | instid1(VALU_DEP_3)
	v_mul_lo_u32 v10, s19, v4
	v_mad_co_u64_u32 v[7:8], null, s18, v4, 0
	v_mul_lo_u32 v11, s18, v9
	s_delay_alu instid0(VALU_DEP_2) | instskip(NEXT) | instid1(VALU_DEP_2)
	v_sub_co_u32 v7, vcc_lo, v5, v7
	v_add3_u32 v8, v8, v11, v10
	s_delay_alu instid0(VALU_DEP_1) | instskip(SKIP_1) | instid1(VALU_DEP_1)
	v_sub_nc_u32_e32 v10, v6, v8
	s_wait_alu 0xfffd
	v_subrev_co_ci_u32_e64 v10, s2, s19, v10, vcc_lo
	v_add_co_u32 v11, s2, v4, 2
	s_wait_alu 0xf1ff
	v_add_co_ci_u32_e64 v12, s2, 0, v9, s2
	v_sub_co_u32 v13, s2, v7, s18
	v_sub_co_ci_u32_e32 v8, vcc_lo, v6, v8, vcc_lo
	s_wait_alu 0xf1ff
	v_subrev_co_ci_u32_e64 v10, s2, 0, v10, s2
	s_delay_alu instid0(VALU_DEP_3) | instskip(NEXT) | instid1(VALU_DEP_3)
	v_cmp_le_u32_e32 vcc_lo, s18, v13
	v_cmp_eq_u32_e64 s2, s19, v8
	s_wait_alu 0xfffd
	v_cndmask_b32_e64 v13, 0, -1, vcc_lo
	v_cmp_le_u32_e32 vcc_lo, s19, v10
	s_wait_alu 0xfffd
	v_cndmask_b32_e64 v14, 0, -1, vcc_lo
	v_cmp_le_u32_e32 vcc_lo, s18, v7
	;; [unrolled: 3-line block ×3, first 2 shown]
	s_wait_alu 0xfffd
	v_cndmask_b32_e64 v15, 0, -1, vcc_lo
	v_cmp_eq_u32_e32 vcc_lo, s19, v10
	s_wait_alu 0xf1ff
	s_delay_alu instid0(VALU_DEP_2)
	v_cndmask_b32_e64 v7, v15, v7, s2
	s_wait_alu 0xfffd
	v_cndmask_b32_e32 v10, v14, v13, vcc_lo
	v_add_co_u32 v13, vcc_lo, v4, 1
	s_wait_alu 0xfffd
	v_add_co_ci_u32_e32 v14, vcc_lo, 0, v9, vcc_lo
	s_delay_alu instid0(VALU_DEP_3) | instskip(SKIP_2) | instid1(VALU_DEP_3)
	v_cmp_ne_u32_e32 vcc_lo, 0, v10
	s_wait_alu 0xfffd
	v_cndmask_b32_e32 v10, v13, v11, vcc_lo
	v_cndmask_b32_e32 v8, v14, v12, vcc_lo
	v_cmp_ne_u32_e32 vcc_lo, 0, v7
	s_wait_alu 0xfffd
	s_delay_alu instid0(VALU_DEP_2)
	v_dual_cndmask_b32 v7, v4, v10 :: v_dual_cndmask_b32 v8, v9, v8
.LBB0_4:                                ;   in Loop: Header=BB0_2 Depth=1
	s_wait_alu 0xfffe
	s_and_not1_saveexec_b32 s2, s20
	s_cbranch_execz .LBB0_6
; %bb.5:                                ;   in Loop: Header=BB0_2 Depth=1
	v_cvt_f32_u32_e32 v4, s18
	s_sub_co_i32 s20, 0, s18
	s_delay_alu instid0(VALU_DEP_1) | instskip(NEXT) | instid1(TRANS32_DEP_1)
	v_rcp_iflag_f32_e32 v4, v4
	v_mul_f32_e32 v4, 0x4f7ffffe, v4
	s_delay_alu instid0(VALU_DEP_1) | instskip(SKIP_1) | instid1(VALU_DEP_1)
	v_cvt_u32_f32_e32 v4, v4
	s_wait_alu 0xfffe
	v_mul_lo_u32 v7, s20, v4
	s_delay_alu instid0(VALU_DEP_1) | instskip(NEXT) | instid1(VALU_DEP_1)
	v_mul_hi_u32 v7, v4, v7
	v_add_nc_u32_e32 v4, v4, v7
	s_delay_alu instid0(VALU_DEP_1) | instskip(NEXT) | instid1(VALU_DEP_1)
	v_mul_hi_u32 v4, v5, v4
	v_mul_lo_u32 v7, v4, s18
	v_add_nc_u32_e32 v8, 1, v4
	s_delay_alu instid0(VALU_DEP_2) | instskip(NEXT) | instid1(VALU_DEP_1)
	v_sub_nc_u32_e32 v7, v5, v7
	v_subrev_nc_u32_e32 v9, s18, v7
	v_cmp_le_u32_e32 vcc_lo, s18, v7
	s_wait_alu 0xfffd
	s_delay_alu instid0(VALU_DEP_2) | instskip(NEXT) | instid1(VALU_DEP_1)
	v_dual_cndmask_b32 v7, v7, v9 :: v_dual_cndmask_b32 v4, v4, v8
	v_cmp_le_u32_e32 vcc_lo, s18, v7
	s_delay_alu instid0(VALU_DEP_2) | instskip(SKIP_1) | instid1(VALU_DEP_1)
	v_add_nc_u32_e32 v8, 1, v4
	s_wait_alu 0xfffd
	v_dual_cndmask_b32 v7, v4, v8 :: v_dual_mov_b32 v8, v3
.LBB0_6:                                ;   in Loop: Header=BB0_2 Depth=1
	s_wait_alu 0xfffe
	s_or_b32 exec_lo, exec_lo, s2
	s_load_b64 s[20:21], s[12:13], 0x0
	s_delay_alu instid0(VALU_DEP_1)
	v_mul_lo_u32 v4, v8, s18
	v_mul_lo_u32 v11, v7, s19
	v_mad_co_u64_u32 v[9:10], null, v7, s18, 0
	s_add_nc_u64 s[14:15], s[14:15], 1
	s_add_nc_u64 s[12:13], s[12:13], 8
	s_wait_alu 0xfffe
	v_cmp_ge_u64_e64 s2, s[14:15], s[6:7]
	s_add_nc_u64 s[16:17], s[16:17], 8
	s_delay_alu instid0(VALU_DEP_2) | instskip(NEXT) | instid1(VALU_DEP_3)
	v_add3_u32 v4, v10, v11, v4
	v_sub_co_u32 v5, vcc_lo, v5, v9
	s_wait_alu 0xfffd
	s_delay_alu instid0(VALU_DEP_2) | instskip(SKIP_3) | instid1(VALU_DEP_2)
	v_sub_co_ci_u32_e32 v4, vcc_lo, v6, v4, vcc_lo
	s_and_b32 vcc_lo, exec_lo, s2
	s_wait_kmcnt 0x0
	v_mul_lo_u32 v6, s21, v5
	v_mul_lo_u32 v4, s20, v4
	v_mad_co_u64_u32 v[1:2], null, s20, v5, v[1:2]
	s_delay_alu instid0(VALU_DEP_1)
	v_add3_u32 v2, v6, v2, v4
	s_wait_alu 0xfffe
	s_cbranch_vccnz .LBB0_9
; %bb.7:                                ;   in Loop: Header=BB0_2 Depth=1
	v_dual_mov_b32 v5, v7 :: v_dual_mov_b32 v6, v8
	s_branch .LBB0_2
.LBB0_8:
	v_dual_mov_b32 v8, v6 :: v_dual_mov_b32 v7, v5
.LBB0_9:
	s_lshl_b64 s[2:3], s[6:7], 3
	v_mul_hi_u32 v3, 0x4a7904b, v0
	s_wait_alu 0xfffe
	s_add_nc_u64 s[2:3], s[10:11], s[2:3]
	s_load_b64 s[2:3], s[2:3], 0x0
	s_load_b64 s[0:1], s[0:1], 0x20
	s_delay_alu instid0(VALU_DEP_1) | instskip(NEXT) | instid1(VALU_DEP_1)
	v_mul_u32_u24_e32 v3, 55, v3
	v_sub_nc_u32_e32 v22, v0, v3
	s_delay_alu instid0(VALU_DEP_1)
	v_lshl_add_u32 v29, v22, 3, 0
	s_wait_kmcnt 0x0
	v_mul_lo_u32 v4, s2, v8
	v_mul_lo_u32 v5, s3, v7
	v_mad_co_u64_u32 v[1:2], null, s2, v7, v[1:2]
	v_cmp_gt_u64_e32 vcc_lo, s[0:1], v[7:8]
	s_delay_alu instid0(VALU_DEP_2) | instskip(NEXT) | instid1(VALU_DEP_1)
	v_add3_u32 v2, v5, v2, v4
	v_lshlrev_b64_e32 v[20:21], 3, v[1:2]
	s_and_saveexec_b32 s1, vcc_lo
	s_cbranch_execz .LBB0_11
; %bb.10:
	v_dual_mov_b32 v23, 0 :: v_dual_add_nc_u32 v18, 0x400, v29
	s_delay_alu instid0(VALU_DEP_2) | instskip(SKIP_2) | instid1(VALU_DEP_3)
	v_add_co_u32 v2, s0, s8, v20
	s_wait_alu 0xf1ff
	v_add_co_ci_u32_e64 v3, s0, s9, v21, s0
	v_lshlrev_b64_e32 v[0:1], 3, v[22:23]
	v_add_nc_u32_e32 v19, 0x800, v29
	s_delay_alu instid0(VALU_DEP_2) | instskip(SKIP_1) | instid1(VALU_DEP_3)
	v_add_co_u32 v0, s0, v2, v0
	s_wait_alu 0xf1ff
	v_add_co_ci_u32_e64 v1, s0, v3, v1, s0
	s_clause 0x8
	global_load_b64 v[2:3], v[0:1], off
	global_load_b64 v[4:5], v[0:1], off offset:440
	global_load_b64 v[6:7], v[0:1], off offset:880
	;; [unrolled: 1-line block ×8, first 2 shown]
	s_wait_loadcnt 0x7
	ds_store_2addr_b64 v29, v[2:3], v[4:5] offset1:55
	s_wait_loadcnt 0x5
	ds_store_2addr_b64 v29, v[6:7], v[8:9] offset0:110 offset1:165
	s_wait_loadcnt 0x3
	ds_store_2addr_b64 v18, v[10:11], v[12:13] offset0:92 offset1:147
	;; [unrolled: 2-line block ×3, first 2 shown]
	s_wait_loadcnt 0x0
	ds_store_b64 v29, v[0:1] offset:3520
.LBB0_11:
	s_wait_alu 0xfffe
	s_or_b32 exec_lo, exec_lo, s1
	global_wb scope:SCOPE_SE
	s_wait_dscnt 0x0
	s_barrier_signal -1
	s_barrier_wait -1
	global_inv scope:SCOPE_SE
	ds_load_2addr_b64 v[0:3], v29 offset1:45
	ds_load_b64 v[25:26], v29 offset:3600
	v_add_nc_u32_e32 v30, 0x800, v29
	s_mov_b32 s1, exec_lo
	s_wait_dscnt 0x0
	v_sub_f32_e32 v41, v3, v26
	ds_load_2addr_b64 v[16:19], v29 offset0:90 offset1:135
	ds_load_2addr_b64 v[4:7], v30 offset0:104 offset1:149
	;; [unrolled: 1-line block ×4, first 2 shown]
	v_dual_sub_f32 v44, v2, v25 :: v_dual_add_f32 v31, v25, v2
	v_add_f32_e32 v37, v26, v3
	v_mul_f32_e32 v49, 0xbf68dda4, v41
	global_wb scope:SCOPE_SE
	s_wait_dscnt 0x0
	v_mul_f32_e32 v53, 0xbf68dda4, v44
	s_barrier_signal -1
	s_barrier_wait -1
	global_inv scope:SCOPE_SE
	v_sub_f32_e32 v46, v16, v6
	v_dual_sub_f32 v42, v17, v7 :: v_dual_add_f32 v33, v4, v18
	v_add_f32_e32 v32, v6, v16
	v_add_f32_e32 v34, v7, v17
	v_dual_add_f32 v36, v5, v19 :: v_dual_sub_f32 v45, v18, v4
	s_delay_alu instid0(VALU_DEP_4) | instskip(SKIP_3) | instid1(VALU_DEP_4)
	v_dual_sub_f32 v43, v19, v5 :: v_dual_mul_f32 v56, 0xbf4178ce, v42
	v_dual_add_f32 v35, v10, v12 :: v_dual_mul_f32 v60, 0xbf4178ce, v46
	v_fma_f32 v24, 0x3ed4b147, v37, -v53
	v_fmamk_f32 v23, v31, 0x3ed4b147, v49
	v_dual_sub_f32 v47, v12, v10 :: v_dual_mul_f32 v52, 0x3e903f40, v43
	v_dual_mul_f32 v57, 0x3e903f40, v45 :: v_dual_sub_f32 v48, v13, v11
	s_delay_alu instid0(VALU_DEP_3)
	v_dual_add_f32 v24, v1, v24 :: v_dual_add_f32 v23, v0, v23
	v_dual_fmamk_f32 v27, v32, 0xbf27a4f4, v56 :: v_dual_add_f32 v38, v11, v13
	v_fma_f32 v28, 0xbf27a4f4, v34, -v60
	v_fmamk_f32 v39, v33, 0xbf75a155, v52
	v_fma_f32 v40, 0xbf75a155, v36, -v57
	v_dual_mul_f32 v54, 0x3f7d64f0, v48 :: v_dual_mul_f32 v59, 0x3f7d64f0, v47
	v_sub_f32_e32 v50, v15, v9
	v_dual_add_f32 v24, v28, v24 :: v_dual_add_f32 v23, v27, v23
	v_sub_f32_e32 v51, v14, v8
	s_delay_alu instid0(VALU_DEP_4) | instskip(SKIP_1) | instid1(VALU_DEP_4)
	v_fmamk_f32 v27, v35, 0xbe11bafb, v54
	v_fma_f32 v28, 0xbe11bafb, v38, -v59
	v_add_f32_e32 v24, v40, v24
	v_add_f32_e32 v40, v9, v15
	;; [unrolled: 1-line block ×3, first 2 shown]
	v_dual_add_f32 v39, v8, v14 :: v_dual_mul_f32 v58, 0x3f0a6770, v51
	s_delay_alu instid0(VALU_DEP_2) | instskip(NEXT) | instid1(VALU_DEP_2)
	v_dual_add_f32 v24, v28, v24 :: v_dual_add_f32 v23, v27, v23
	v_fma_f32 v28, 0x3f575c64, v40, -v58
	s_delay_alu instid0(VALU_DEP_1) | instskip(NEXT) | instid1(VALU_DEP_1)
	v_dual_mul_f32 v55, 0x3f0a6770, v50 :: v_dual_add_f32 v24, v28, v24
	v_fmamk_f32 v27, v39, 0x3f575c64, v55
	s_delay_alu instid0(VALU_DEP_1)
	v_add_f32_e32 v23, v27, v23
	v_cmpx_gt_u32_e32 45, v22
	s_cbranch_execz .LBB0_13
; %bb.12:
	v_dual_mul_f32 v61, 0xbe903f40, v44 :: v_dual_mul_f32 v66, 0xbe903f40, v41
	v_dual_mul_f32 v64, 0x3f68dda4, v47 :: v_dual_mul_f32 v69, 0x3f68dda4, v48
	;; [unrolled: 1-line block ×3, first 2 shown]
	s_delay_alu instid0(VALU_DEP_3) | instskip(SKIP_1) | instid1(VALU_DEP_4)
	v_fma_f32 v71, 0xbf75a155, v31, -v66
	v_dual_mul_f32 v65, 0xbf7d64f0, v51 :: v_dual_mul_f32 v70, 0xbf7d64f0, v50
	v_dual_add_f32 v3, v1, v3 :: v_dual_fmamk_f32 v74, v38, 0x3ed4b147, v64
	s_delay_alu instid0(VALU_DEP_3)
	v_add_f32_e32 v71, v0, v71
	v_fmamk_f32 v27, v37, 0xbf75a155, v61
	v_mul_f32_e32 v62, 0x3f0a6770, v46
	v_fmamk_f32 v72, v36, 0xbf27a4f4, v63
	v_fma_f32 v75, 0xbf27a4f4, v33, -v68
	v_dual_mul_f32 v80, 0x3f68dda4, v51 :: v_dual_add_f32 v17, v3, v17
	s_delay_alu instid0(VALU_DEP_4) | instskip(SKIP_1) | instid1(VALU_DEP_3)
	v_dual_add_f32 v27, v1, v27 :: v_dual_fmamk_f32 v28, v34, 0x3f575c64, v62
	v_dual_mul_f32 v73, 0xbf4178ce, v44 :: v_dual_add_f32 v2, v0, v2
	v_add_f32_e32 v17, v17, v19
	v_mul_f32_e32 v82, 0xbf0a6770, v43
	s_delay_alu instid0(VALU_DEP_4)
	v_add_f32_e32 v27, v28, v27
	v_fma_f32 v76, 0x3ed4b147, v35, -v69
	v_mul_f32_e32 v19, 0x3e903f40, v46
	v_add_f32_e32 v13, v17, v13
	v_mul_f32_e32 v85, 0x3e903f40, v42
	v_add_f32_e32 v27, v72, v27
	v_fmamk_f32 v72, v40, 0xbe11bafb, v65
	v_mul_f32_e32 v90, 0xbf27a4f4, v34
	v_dual_fmac_f32 v69, 0x3ed4b147, v35 :: v_dual_add_f32 v2, v2, v16
	s_delay_alu instid0(VALU_DEP_4)
	v_add_f32_e32 v27, v74, v27
	v_mul_f32_e32 v67, 0x3f0a6770, v42
	v_mul_f32_e32 v74, 0x3f7d64f0, v46
	v_fma_f32 v16, 0x3f575c64, v33, -v82
	v_mul_f32_e32 v83, 0xbf7d64f0, v44
	v_dual_mul_f32 v77, 0xbf4178ce, v41 :: v_dual_add_f32 v2, v2, v18
	v_fma_f32 v28, 0x3f575c64, v32, -v67
	v_mul_f32_e32 v86, 0x3f68dda4, v43
	s_delay_alu instid0(VALU_DEP_4) | instskip(NEXT) | instid1(VALU_DEP_4)
	v_fmamk_f32 v18, v37, 0xbe11bafb, v83
	v_dual_mul_f32 v79, 0xbe903f40, v47 :: v_dual_add_f32 v2, v2, v12
	s_delay_alu instid0(VALU_DEP_4) | instskip(NEXT) | instid1(VALU_DEP_3)
	v_dual_add_f32 v28, v28, v71 :: v_dual_fmamk_f32 v71, v37, 0xbf27a4f4, v73
	v_add_f32_e32 v18, v1, v18
	v_fmamk_f32 v12, v34, 0xbf75a155, v19
	s_delay_alu instid0(VALU_DEP_3) | instskip(NEXT) | instid1(VALU_DEP_4)
	v_dual_add_f32 v84, v2, v14 :: v_dual_add_f32 v75, v75, v28
	v_add_f32_e32 v71, v1, v71
	v_add_f32_e32 v28, v72, v27
	v_mul_f32_e32 v72, 0xbf0a6770, v45
	v_fmamk_f32 v27, v34, 0xbe11bafb, v74
	v_add_f32_e32 v75, v76, v75
	v_fma_f32 v76, 0xbe11bafb, v39, -v70
	v_fma_f32 v14, 0xbf75a155, v32, -v85
	s_delay_alu instid0(VALU_DEP_4) | instskip(SKIP_1) | instid1(VALU_DEP_4)
	v_dual_fmamk_f32 v78, v36, 0x3f575c64, v72 :: v_dual_add_f32 v71, v27, v71
	v_mul_f32_e32 v17, 0xbf7d64f0, v41
	v_add_f32_e32 v27, v76, v75
	v_fma_f32 v75, 0xbf27a4f4, v31, -v77
	s_delay_alu instid0(VALU_DEP_4) | instskip(SKIP_2) | instid1(VALU_DEP_4)
	v_dual_mul_f32 v76, 0x3f7d64f0, v42 :: v_dual_add_f32 v71, v78, v71
	v_fmamk_f32 v78, v38, 0xbf75a155, v79
	v_fma_f32 v2, 0xbe11bafb, v31, -v17
	v_add_f32_e32 v75, v0, v75
	s_delay_alu instid0(VALU_DEP_4) | instskip(NEXT) | instid1(VALU_DEP_4)
	v_fma_f32 v81, 0xbe11bafb, v32, -v76
	v_dual_add_f32 v12, v12, v18 :: v_dual_add_f32 v71, v78, v71
	v_fmamk_f32 v78, v40, 0x3ed4b147, v80
	v_mul_f32_e32 v43, 0xbf7d64f0, v43
	s_delay_alu instid0(VALU_DEP_4) | instskip(SKIP_1) | instid1(VALU_DEP_4)
	v_add_f32_e32 v75, v81, v75
	v_dual_mul_f32 v81, 0xbe903f40, v48 :: v_dual_add_f32 v2, v0, v2
	v_add_f32_e32 v3, v78, v71
	v_add_f32_e32 v78, v13, v15
	s_delay_alu instid0(VALU_DEP_4) | instskip(NEXT) | instid1(VALU_DEP_4)
	v_add_f32_e32 v16, v16, v75
	v_fma_f32 v71, 0xbf75a155, v35, -v81
	v_mul_f32_e32 v75, 0x3f68dda4, v50
	v_add_f32_e32 v14, v14, v2
	v_fma_f32 v87, 0x3ed4b147, v33, -v86
	v_mul_f32_e32 v18, 0xbf0a6770, v47
	v_add_f32_e32 v16, v71, v16
	v_fma_f32 v15, 0x3ed4b147, v39, -v75
	v_mul_f32_e32 v71, 0x3f68dda4, v45
	v_mul_f32_e32 v89, 0xbf4178ce, v50
	v_mul_f32_e32 v45, 0xbf7d64f0, v45
	;; [unrolled: 1-line block ×3, first 2 shown]
	s_delay_alu instid0(VALU_DEP_4)
	v_dual_add_f32 v2, v15, v16 :: v_dual_fmamk_f32 v13, v36, 0x3ed4b147, v71
	v_mul_f32_e32 v15, 0x3ed4b147, v37
	v_mul_f32_e32 v88, 0xbf0a6770, v48
	;; [unrolled: 1-line block ×5, first 2 shown]
	v_add_f32_e32 v15, v53, v15
	v_dual_add_f32 v53, v60, v90 :: v_dual_mul_f32 v60, 0x3ed4b147, v31
	v_dual_add_f32 v12, v13, v12 :: v_dual_fmamk_f32 v13, v38, 0x3f575c64, v18
	s_delay_alu instid0(VALU_DEP_3) | instskip(SKIP_1) | instid1(VALU_DEP_4)
	v_add_f32_e32 v15, v1, v15
	v_fma_f32 v19, 0xbf75a155, v34, -v19
	v_dual_sub_f32 v49, v60, v49 :: v_dual_mul_f32 v42, 0xbf68dda4, v42
	s_delay_alu instid0(VALU_DEP_4) | instskip(SKIP_2) | instid1(VALU_DEP_4)
	v_dual_add_f32 v12, v13, v12 :: v_dual_add_f32 v13, v87, v14
	v_fma_f32 v14, 0x3f575c64, v35, -v88
	v_fmamk_f32 v87, v40, 0xbf27a4f4, v16
	v_add_f32_e32 v49, v0, v49
	v_fma_f32 v18, 0x3f575c64, v38, -v18
	v_fma_f32 v16, 0xbf27a4f4, v40, -v16
	s_delay_alu instid0(VALU_DEP_4)
	v_dual_add_f32 v14, v14, v13 :: v_dual_add_f32 v13, v87, v12
	v_fma_f32 v12, 0xbf27a4f4, v39, -v89
	v_mul_f32_e32 v87, 0xbf75a155, v36
	v_fmac_f32_e32 v89, 0xbf27a4f4, v39
	v_mul_f32_e32 v48, 0xbf4178ce, v48
	v_fmac_f32_e32 v66, 0xbf75a155, v31
	v_add_f32_e32 v12, v12, v14
	v_mul_f32_e32 v14, 0xbf27a4f4, v32
	v_mul_f32_e32 v50, 0xbe903f40, v50
	v_fmac_f32_e32 v85, 0xbf75a155, v32
	v_fmac_f32_e32 v68, 0xbf27a4f4, v33
	;; [unrolled: 1-line block ×3, first 2 shown]
	v_dual_sub_f32 v14, v14, v56 :: v_dual_add_f32 v15, v53, v15
	v_dual_add_f32 v53, v57, v87 :: v_dual_fmac_f32 v76, 0xbe11bafb, v32
	v_fmac_f32_e32 v70, 0xbe11bafb, v39
	s_delay_alu instid0(VALU_DEP_3) | instskip(NEXT) | instid1(VALU_DEP_3)
	v_dual_add_f32 v14, v14, v49 :: v_dual_fmamk_f32 v49, v37, 0x3f575c64, v44
	v_add_f32_e32 v15, v53, v15
	v_mul_f32_e32 v53, 0xbf75a155, v33
	v_mul_f32_e32 v57, 0xbe11bafb, v38
	v_fmac_f32_e32 v88, 0x3f575c64, v35
	v_fmac_f32_e32 v86, 0x3ed4b147, v33
	s_delay_alu instid0(VALU_DEP_4) | instskip(NEXT) | instid1(VALU_DEP_4)
	v_sub_f32_e32 v52, v53, v52
	v_dual_add_f32 v56, v59, v57 :: v_dual_mul_f32 v53, 0xbe11bafb, v35
	s_delay_alu instid0(VALU_DEP_2) | instskip(NEXT) | instid1(VALU_DEP_2)
	v_add_f32_e32 v14, v52, v14
	v_dual_add_f32 v15, v56, v15 :: v_dual_sub_f32 v52, v53, v54
	v_dual_mul_f32 v54, 0x3f575c64, v39 :: v_dual_add_f32 v49, v1, v49
	v_fmamk_f32 v56, v34, 0x3ed4b147, v46
	s_delay_alu instid0(VALU_DEP_3) | instskip(NEXT) | instid1(VALU_DEP_3)
	v_add_f32_e32 v14, v52, v14
	v_sub_f32_e32 v54, v54, v55
	v_fma_f32 v55, 0x3ed4b147, v32, -v42
	v_mul_f32_e32 v41, 0xbf0a6770, v41
	v_mul_f32_e32 v53, 0x3f575c64, v40
	v_fmac_f32_e32 v42, 0x3ed4b147, v32
	v_add_f32_e32 v14, v54, v14
	v_fmamk_f32 v54, v40, 0xbf75a155, v51
	v_fma_f32 v52, 0x3f575c64, v31, -v41
	v_add_f32_e32 v53, v58, v53
	s_delay_alu instid0(VALU_DEP_2) | instskip(NEXT) | instid1(VALU_DEP_2)
	v_dual_fmac_f32 v17, 0xbe11bafb, v31 :: v_dual_add_f32 v52, v0, v52
	v_add_f32_e32 v15, v53, v15
	v_fma_f32 v53, 0xbe11bafb, v33, -v43
	s_delay_alu instid0(VALU_DEP_3) | instskip(SKIP_1) | instid1(VALU_DEP_2)
	v_dual_add_f32 v17, v0, v17 :: v_dual_add_f32 v52, v55, v52
	v_mul_f32_e32 v47, 0xbf4178ce, v47
	v_dual_add_f32 v55, v78, v9 :: v_dual_add_f32 v52, v53, v52
	v_add_f32_e32 v49, v56, v49
	v_fmamk_f32 v56, v36, 0xbe11bafb, v45
	v_fma_f32 v53, 0xbf27a4f4, v35, -v48
	s_delay_alu instid0(VALU_DEP_2) | instskip(SKIP_1) | instid1(VALU_DEP_3)
	v_dual_fmac_f32 v48, 0xbf27a4f4, v35 :: v_dual_add_f32 v49, v56, v49
	v_fmamk_f32 v56, v38, 0xbf27a4f4, v47
	v_add_f32_e32 v52, v53, v52
	v_fma_f32 v53, 0xbf75a155, v39, -v50
	v_fmac_f32_e32 v50, 0xbf75a155, v39
	v_fmac_f32_e32 v43, 0xbe11bafb, v33
	v_add_f32_e32 v49, v56, v49
	v_fmac_f32_e32 v41, 0x3f575c64, v31
	v_fmac_f32_e32 v75, 0x3ed4b147, v39
	v_add_f32_e32 v17, v85, v17
	s_delay_alu instid0(VALU_DEP_4) | instskip(SKIP_4) | instid1(VALU_DEP_4)
	v_dual_add_f32 v9, v54, v49 :: v_dual_add_f32 v54, v84, v8
	v_fma_f32 v49, 0xbf75a155, v37, -v61
	v_add_f32_e32 v11, v55, v11
	v_fma_f32 v55, 0x3f575c64, v34, -v62
	v_add_f32_e32 v8, v53, v52
	v_dual_add_f32 v10, v54, v10 :: v_dual_add_f32 v49, v1, v49
	v_dual_add_f32 v52, v0, v66 :: v_dual_add_f32 v17, v86, v17
	s_delay_alu instid0(VALU_DEP_2) | instskip(SKIP_1) | instid1(VALU_DEP_4)
	v_dual_add_f32 v4, v10, v4 :: v_dual_add_f32 v5, v11, v5
	v_fma_f32 v10, 0x3ed4b147, v38, -v64
	v_add_f32_e32 v11, v55, v49
	v_fma_f32 v49, 0xbf27a4f4, v36, -v63
	s_delay_alu instid0(VALU_DEP_4) | instskip(SKIP_1) | instid1(VALU_DEP_2)
	v_dual_add_f32 v4, v4, v6 :: v_dual_add_f32 v5, v5, v7
	v_add_f32_e32 v17, v88, v17
	v_dual_add_f32 v7, v49, v11 :: v_dual_add_f32 v4, v4, v25
	v_add_f32_e32 v11, v67, v52
	s_delay_alu instid0(VALU_DEP_4) | instskip(SKIP_1) | instid1(VALU_DEP_4)
	v_add_f32_e32 v5, v5, v26
	v_fma_f32 v26, 0xbe11bafb, v37, -v83
	v_add_f32_e32 v6, v10, v7
	v_fma_f32 v7, 0xbe11bafb, v40, -v65
	;; [unrolled: 2-line block ×3, first 2 shown]
	v_dual_fmac_f32 v77, 0xbf27a4f4, v31 :: v_dual_add_f32 v26, v1, v26
	s_delay_alu instid0(VALU_DEP_4) | instskip(NEXT) | instid1(VALU_DEP_4)
	v_add_f32_e32 v7, v7, v6
	v_add_f32_e32 v6, v69, v10
	s_delay_alu instid0(VALU_DEP_4) | instskip(SKIP_4) | instid1(VALU_DEP_4)
	v_add_f32_e32 v10, v1, v11
	v_fma_f32 v11, 0xbe11bafb, v34, -v74
	v_add_f32_e32 v25, v0, v77
	v_dual_fmac_f32 v82, 0x3f575c64, v33 :: v_dual_add_f32 v19, v19, v26
	v_fma_f32 v26, 0x3ed4b147, v36, -v71
	v_add_f32_e32 v10, v11, v10
	v_fma_f32 v11, 0x3f575c64, v36, -v72
	v_add_f32_e32 v25, v76, v25
	v_dual_fmac_f32 v81, 0xbf75a155, v35 :: v_dual_add_f32 v6, v70, v6
	v_add_f32_e32 v0, v0, v41
	s_delay_alu instid0(VALU_DEP_4)
	v_add_f32_e32 v10, v11, v10
	v_fma_f32 v11, 0xbf75a155, v38, -v79
	v_add_f32_e32 v25, v82, v25
	v_add_f32_e32 v19, v26, v19
	;; [unrolled: 1-line block ×3, first 2 shown]
	v_mad_u32_u24 v31, 0x50, v22, v29
	v_add_f32_e32 v10, v11, v10
	v_fma_f32 v11, 0x3ed4b147, v40, -v80
	v_dual_add_f32 v25, v81, v25 :: v_dual_add_f32 v18, v18, v19
	v_fma_f32 v19, 0x3f575c64, v37, -v44
	v_add_f32_e32 v0, v43, v0
	s_delay_alu instid0(VALU_DEP_4) | instskip(NEXT) | instid1(VALU_DEP_4)
	v_add_f32_e32 v11, v11, v10
	v_add_f32_e32 v10, v75, v25
	v_fma_f32 v25, 0xbf75a155, v40, -v51
	v_add_f32_e32 v1, v1, v19
	v_fma_f32 v19, 0x3ed4b147, v34, -v46
	v_add_f32_e32 v26, v48, v0
	v_add_f32_e32 v0, v89, v17
	s_delay_alu instid0(VALU_DEP_3) | instskip(SKIP_1) | instid1(VALU_DEP_1)
	v_add_f32_e32 v1, v19, v1
	v_fma_f32 v19, 0xbe11bafb, v36, -v45
	v_add_f32_e32 v1, v19, v1
	v_fma_f32 v19, 0xbf27a4f4, v38, -v47
	s_delay_alu instid0(VALU_DEP_1) | instskip(SKIP_1) | instid1(VALU_DEP_2)
	v_add_f32_e32 v19, v19, v1
	v_add_f32_e32 v1, v16, v18
	v_dual_add_f32 v16, v50, v26 :: v_dual_add_f32 v17, v25, v19
	ds_store_2addr_b64 v31, v[4:5], v[8:9] offset1:1
	ds_store_2addr_b64 v31, v[14:15], v[12:13] offset0:2 offset1:3
	ds_store_2addr_b64 v31, v[2:3], v[27:28] offset0:4 offset1:5
	;; [unrolled: 1-line block ×4, first 2 shown]
	ds_store_b64 v31, v[16:17] offset:80
.LBB0_13:
	s_wait_alu 0xfffe
	s_or_b32 exec_lo, exec_lo, s1
	v_and_b32_e32 v0, 0xff, v22
	global_wb scope:SCOPE_SE
	s_wait_dscnt 0x0
	s_barrier_signal -1
	s_barrier_wait -1
	global_inv scope:SCOPE_SE
	v_mul_lo_u16 v0, 0x75, v0
	v_cmp_gt_u32_e64 s0, 44, v22
	s_delay_alu instid0(VALU_DEP_2) | instskip(NEXT) | instid1(VALU_DEP_1)
	v_lshrrev_b16 v0, 8, v0
	v_sub_nc_u16 v1, v22, v0
	s_delay_alu instid0(VALU_DEP_1) | instskip(NEXT) | instid1(VALU_DEP_1)
	v_lshrrev_b16 v1, 1, v1
	v_and_b32_e32 v1, 0x7f, v1
	s_delay_alu instid0(VALU_DEP_1) | instskip(NEXT) | instid1(VALU_DEP_1)
	v_add_nc_u16 v0, v1, v0
	v_lshrrev_b16 v26, 3, v0
	s_delay_alu instid0(VALU_DEP_1) | instskip(NEXT) | instid1(VALU_DEP_1)
	v_mul_lo_u16 v0, v26, 11
	v_sub_nc_u16 v0, v22, v0
	s_delay_alu instid0(VALU_DEP_1) | instskip(NEXT) | instid1(VALU_DEP_1)
	v_and_b32_e32 v28, 0xff, v0
	v_lshlrev_b32_e32 v12, 6, v28
	s_clause 0x3
	global_load_b128 v[0:3], v12, s[4:5]
	global_load_b128 v[4:7], v12, s[4:5] offset:16
	global_load_b128 v[8:11], v12, s[4:5] offset:32
	;; [unrolled: 1-line block ×3, first 2 shown]
	ds_load_2addr_b64 v[16:19], v29 offset1:55
	v_add_nc_u32_e32 v25, 0x400, v29
	v_and_b32_e32 v43, 0xffff, v26
	ds_load_2addr_b64 v[31:34], v29 offset0:110 offset1:165
	ds_load_2addr_b64 v[35:38], v25 offset0:92 offset1:147
	ds_load_2addr_b64 v[39:42], v30 offset0:74 offset1:129
	ds_load_b64 v[26:27], v29 offset:3520
	v_lshlrev_b32_e32 v28, 3, v28
	global_wb scope:SCOPE_SE
	s_wait_loadcnt_dscnt 0x0
	s_barrier_signal -1
	s_barrier_wait -1
	global_inv scope:SCOPE_SE
	v_mul_f32_e32 v44, v5, v34
	v_mul_f32_e32 v5, v5, v33
	;; [unrolled: 1-line block ×3, first 2 shown]
	v_mul_u32_u24_e32 v30, 0x318, v43
	v_mul_f32_e32 v43, v3, v32
	v_mul_f32_e32 v3, v3, v31
	v_dual_mul_f32 v45, v7, v36 :: v_dual_mul_f32 v46, v9, v38
	s_delay_alu instid0(VALU_DEP_4) | instskip(SKIP_3) | instid1(VALU_DEP_3)
	v_add3_u32 v28, 0, v30, v28
	v_mul_f32_e32 v30, v1, v19
	v_mul_f32_e32 v1, v1, v18
	v_fmac_f32_e32 v5, v4, v34
	v_fma_f32 v18, v0, v18, -v30
	s_delay_alu instid0(VALU_DEP_3)
	v_fmac_f32_e32 v1, v0, v19
	v_fma_f32 v0, v2, v31, -v43
	v_fmac_f32_e32 v3, v2, v32
	v_fma_f32 v2, v4, v33, -v44
	v_mul_f32_e32 v13, v41, v13
	v_mul_f32_e32 v7, v7, v35
	;; [unrolled: 1-line block ×3, first 2 shown]
	v_fma_f32 v4, v6, v35, -v45
	s_delay_alu instid0(VALU_DEP_4)
	v_fmac_f32_e32 v13, v42, v12
	v_mul_f32_e32 v9, v40, v11
	v_fmac_f32_e32 v7, v6, v36
	v_fma_f32 v6, v8, v37, -v46
	v_mul_f32_e32 v49, v27, v15
	v_mul_f32_e32 v15, v26, v15
	v_fmac_f32_e32 v47, v8, v38
	v_fma_f32 v8, v39, v10, -v9
	s_delay_alu instid0(VALU_DEP_4) | instskip(SKIP_2) | instid1(VALU_DEP_4)
	v_fma_f32 v9, v26, v14, -v49
	v_add_f32_e32 v26, v3, v13
	v_fmac_f32_e32 v15, v27, v14
	v_add_f32_e32 v27, v2, v8
	v_dual_sub_f32 v3, v3, v13 :: v_dual_sub_f32 v2, v2, v8
	v_mul_f32_e32 v11, v39, v11
	v_fma_f32 v14, v41, v12, -v48
	s_delay_alu instid0(VALU_DEP_4) | instskip(SKIP_1) | instid1(VALU_DEP_4)
	v_add_f32_e32 v8, v27, v16
	v_dual_sub_f32 v13, v7, v47 :: v_dual_fmamk_f32 v46, v26, 0x3f441b7d, v17
	v_dual_fmac_f32 v11, v40, v10 :: v_dual_add_f32 v10, v18, v9
	v_sub_f32_e32 v18, v18, v9
	s_delay_alu instid0(VALU_DEP_3) | instskip(SKIP_2) | instid1(VALU_DEP_1)
	v_mul_f32_e32 v44, 0x3f7c1c5c, v13
	v_mul_f32_e32 v36, 0xbf248dbb, v13
	v_add_f32_e32 v12, v1, v15
	v_dual_add_f32 v42, v26, v12 :: v_dual_sub_f32 v1, v1, v15
	v_fmamk_f32 v34, v12, 0x3f441b7d, v17
	s_delay_alu instid0(VALU_DEP_2) | instskip(SKIP_4) | instid1(VALU_DEP_3)
	v_add_f32_e32 v40, v13, v1
	v_add_f32_e32 v30, v5, v11
	v_dual_add_f32 v15, v7, v47 :: v_dual_mul_f32 v32, 0x3f248dbb, v1
	v_dual_sub_f32 v5, v5, v11 :: v_dual_fmac_f32 v36, 0x3f7c1c5c, v1
	v_fmac_f32_e32 v34, 0x3e31d0d4, v26
	v_add_f32_e32 v49, v15, v42
	v_add_f32_e32 v42, v30, v42
	v_dual_add_f32 v19, v0, v14 :: v_dual_fmamk_f32 v38, v15, 0x3f441b7d, v17
	v_sub_f32_e32 v0, v0, v14
	v_sub_f32_e32 v11, v4, v6
	v_add_f32_e32 v14, v4, v6
	v_dual_mul_f32 v31, 0x3f248dbb, v18 :: v_dual_sub_f32 v40, v40, v3
	v_dual_fmac_f32 v32, 0x3f7c1c5c, v3 :: v_dual_add_f32 v41, v19, v10
	s_delay_alu instid0(VALU_DEP_4) | instskip(SKIP_1) | instid1(VALU_DEP_4)
	v_dual_fmac_f32 v38, 0x3e31d0d4, v12 :: v_dual_add_f32 v39, v11, v18
	v_fmac_f32_e32 v46, 0x3e31d0d4, v15
	v_fmac_f32_e32 v31, 0x3f7c1c5c, v0
	s_delay_alu instid0(VALU_DEP_4) | instskip(SKIP_3) | instid1(VALU_DEP_3)
	v_fmac_f32_e32 v32, 0x3f5db3d7, v5
	v_dual_add_f32 v48, v14, v41 :: v_dual_mul_f32 v43, 0x3f7c1c5c, v11
	v_dual_mul_f32 v35, 0xbf248dbb, v11 :: v_dual_fmac_f32 v34, -0.5, v30
	v_fma_f32 v44, 0xbf248dbb, v3, -v44
	v_fmac_f32_e32 v8, -0.5, v48
	s_delay_alu instid0(VALU_DEP_4) | instskip(SKIP_1) | instid1(VALU_DEP_4)
	v_fma_f32 v43, 0xbf248dbb, v0, -v43
	v_fmac_f32_e32 v46, -0.5, v30
	v_dual_fmac_f32 v31, 0x3f5db3d7, v2 :: v_dual_fmac_f32 v44, 0x3f5db3d7, v5
	v_dual_add_f32 v41, v27, v41 :: v_dual_fmac_f32 v34, 0xbf708fb2, v15
	s_delay_alu instid0(VALU_DEP_4) | instskip(NEXT) | instid1(VALU_DEP_3)
	v_fmac_f32_e32 v43, 0x3f5db3d7, v2
	v_dual_fmac_f32 v31, 0x3eaf1d44, v11 :: v_dual_fmac_f32 v32, 0x3eaf1d44, v13
	v_fmac_f32_e32 v35, 0x3f7c1c5c, v18
	v_fmamk_f32 v33, v10, 0x3f441b7d, v16
	v_fmamk_f32 v37, v14, 0x3f441b7d, v16
	v_dual_fmac_f32 v43, 0x3eaf1d44, v18 :: v_dual_fmac_f32 v44, 0x3eaf1d44, v1
	s_delay_alu instid0(VALU_DEP_4) | instskip(SKIP_2) | instid1(VALU_DEP_3)
	v_dual_fmac_f32 v35, 0xbf5db3d7, v2 :: v_dual_add_f32 v2, v4, v41
	v_fmamk_f32 v45, v19, 0x3f441b7d, v16
	v_dual_sub_f32 v39, v39, v0 :: v_dual_fmac_f32 v36, 0xbf5db3d7, v5
	v_dual_add_f32 v4, v7, v42 :: v_dual_fmac_f32 v35, 0x3eaf1d44, v0
	s_delay_alu instid0(VALU_DEP_4) | instskip(SKIP_4) | instid1(VALU_DEP_4)
	v_add_f32_e32 v0, v6, v2
	v_fmac_f32_e32 v37, 0x3e31d0d4, v10
	v_dual_add_f32 v9, v30, v17 :: v_dual_fmac_f32 v38, -0.5, v30
	v_fmac_f32_e32 v45, 0x3e31d0d4, v14
	v_mul_f32_e32 v50, 0x3f5db3d7, v39
	v_dual_fmac_f32 v37, -0.5, v27 :: v_dual_fmac_f32 v8, 0x3f5db3d7, v40
	s_delay_alu instid0(VALU_DEP_4) | instskip(NEXT) | instid1(VALU_DEP_4)
	v_dual_fmac_f32 v9, -0.5, v49 :: v_dual_fmac_f32 v36, 0x3eaf1d44, v3
	v_dual_fmac_f32 v45, -0.5, v27 :: v_dual_fmac_f32 v46, 0xbf708fb2, v12
	s_delay_alu instid0(VALU_DEP_3) | instskip(SKIP_2) | instid1(VALU_DEP_4)
	v_fmac_f32_e32 v37, 0xbf708fb2, v19
	v_fmac_f32_e32 v33, 0x3e31d0d4, v19
	;; [unrolled: 1-line block ×4, first 2 shown]
	s_delay_alu instid0(VALU_DEP_4) | instskip(NEXT) | instid1(VALU_DEP_4)
	v_dual_add_f32 v1, v47, v4 :: v_dual_add_f32 v12, v36, v37
	v_fmac_f32_e32 v33, -0.5, v27
	s_delay_alu instid0(VALU_DEP_3) | instskip(SKIP_2) | instid1(VALU_DEP_4)
	v_dual_sub_f32 v19, v46, v43 :: v_dual_add_f32 v18, v44, v45
	v_mul_f32_e32 v51, 0x3f5db3d7, v40
	v_fmac_f32_e32 v9, 0xbf5db3d7, v39
	v_fmac_f32_e32 v33, 0xbf708fb2, v14
	v_sub_f32_e32 v13, v38, v35
	v_dual_sub_f32 v11, v34, v31 :: v_dual_add_f32 v14, v16, v0
	v_add_f32_e32 v15, v17, v1
	s_delay_alu instid0(VALU_DEP_4)
	v_add_f32_e32 v10, v32, v33
	v_fma_f32 v0, -2.0, v44, v18
	v_fma_f32 v1, 2.0, v43, v19
	v_fma_f32 v2, -2.0, v51, v8
	v_fma_f32 v3, 2.0, v50, v9
	;; [unrolled: 2-line block ×4, first 2 shown]
	ds_store_2addr_b64 v28, v[14:15], v[10:11] offset1:11
	ds_store_2addr_b64 v28, v[12:13], v[8:9] offset0:22 offset1:33
	ds_store_2addr_b64 v28, v[18:19], v[0:1] offset0:44 offset1:55
	;; [unrolled: 1-line block ×3, first 2 shown]
	ds_store_b64 v28, v[6:7] offset:704
	global_wb scope:SCOPE_SE
	s_wait_dscnt 0x0
	s_barrier_signal -1
	s_barrier_wait -1
	global_inv scope:SCOPE_SE
	ds_load_2addr_b64 v[8:11], v29 offset1:99
	ds_load_2addr_b64 v[12:15], v25 offset0:70 offset1:169
	ds_load_b64 v[18:19], v29 offset:3168
	s_and_saveexec_b32 s1, s0
	s_cbranch_execz .LBB0_15
; %bb.14:
	ds_load_2addr_b64 v[0:3], v29 offset0:55 offset1:154
	ds_load_2addr_b64 v[4:7], v25 offset0:125 offset1:224
	ds_load_b64 v[23:24], v29 offset:3608
.LBB0_15:
	s_wait_alu 0xfffe
	s_or_b32 exec_lo, exec_lo, s1
	v_dual_mov_b32 v17, 0 :: v_dual_lshlrev_b32 v16, 2, v22
	s_delay_alu instid0(VALU_DEP_1) | instskip(NEXT) | instid1(VALU_DEP_1)
	v_lshlrev_b64_e32 v[26:27], 3, v[16:17]
	v_add_co_u32 v26, s1, s4, v26
	s_wait_alu 0xf1ff
	s_delay_alu instid0(VALU_DEP_2)
	v_add_co_ci_u32_e64 v27, s1, s5, v27, s1
	s_clause 0x1
	global_load_b128 v[30:33], v[26:27], off offset:704
	global_load_b128 v[34:37], v[26:27], off offset:720
	global_wb scope:SCOPE_SE
	s_wait_loadcnt_dscnt 0x0
	s_barrier_signal -1
	s_barrier_wait -1
	global_inv scope:SCOPE_SE
	v_dual_mul_f32 v16, v31, v11 :: v_dual_mul_f32 v27, v33, v13
	v_mul_f32_e32 v26, v31, v10
	v_dual_mul_f32 v28, v33, v12 :: v_dual_mul_f32 v31, v35, v15
	v_mul_f32_e32 v33, v35, v14
	v_mul_f32_e32 v35, v37, v19
	s_delay_alu instid0(VALU_DEP_4) | instskip(NEXT) | instid1(VALU_DEP_4)
	v_dual_fmac_f32 v26, v30, v11 :: v_dual_mul_f32 v37, v37, v18
	v_fmac_f32_e32 v28, v32, v13
	v_fma_f32 v10, v30, v10, -v16
	v_fma_f32 v11, v32, v12, -v27
	;; [unrolled: 1-line block ×3, first 2 shown]
	v_fmac_f32_e32 v37, v36, v19
	v_fma_f32 v16, v36, v18, -v35
	v_fmac_f32_e32 v33, v34, v15
	s_delay_alu instid0(VALU_DEP_4) | instskip(NEXT) | instid1(VALU_DEP_3)
	v_dual_add_f32 v13, v8, v10 :: v_dual_add_f32 v14, v11, v12
	v_dual_sub_f32 v19, v26, v37 :: v_dual_sub_f32 v32, v12, v16
	v_sub_f32_e32 v18, v16, v12
	v_dual_add_f32 v30, v10, v16 :: v_dual_sub_f32 v31, v11, v10
	v_dual_sub_f32 v36, v10, v16 :: v_dual_add_f32 v35, v28, v33
	v_dual_sub_f32 v27, v28, v33 :: v_dual_add_f32 v34, v9, v26
	v_dual_sub_f32 v15, v10, v11 :: v_dual_sub_f32 v38, v11, v12
	v_add_f32_e32 v41, v26, v37
	v_dual_sub_f32 v39, v26, v28 :: v_dual_sub_f32 v40, v37, v33
	v_add_f32_e32 v13, v13, v11
	v_fma_f32 v10, -0.5, v14, v8
	v_fma_f32 v8, -0.5, v30, v8
	v_add_f32_e32 v30, v31, v32
	v_fma_f32 v11, -0.5, v35, v9
	v_sub_f32_e32 v26, v28, v26
	v_dual_sub_f32 v42, v33, v37 :: v_dual_add_f32 v43, v15, v18
	v_add_f32_e32 v15, v34, v28
	v_fma_f32 v9, -0.5, v41, v9
	v_add_f32_e32 v28, v39, v40
	v_dual_add_f32 v18, v13, v12 :: v_dual_fmamk_f32 v13, v36, 0xbf737871, v11
	v_fmamk_f32 v12, v19, 0x3f737871, v10
	v_fmac_f32_e32 v10, 0xbf737871, v19
	v_dual_add_f32 v26, v26, v42 :: v_dual_add_f32 v31, v15, v33
	v_fmamk_f32 v14, v27, 0xbf737871, v8
	v_dual_fmac_f32 v8, 0x3f737871, v27 :: v_dual_fmac_f32 v11, 0x3f737871, v36
	v_fmamk_f32 v15, v38, 0x3f737871, v9
	v_fmac_f32_e32 v9, 0xbf737871, v38
	v_fmac_f32_e32 v12, 0x3f167918, v27
	v_dual_fmac_f32 v10, 0xbf167918, v27 :: v_dual_fmac_f32 v13, 0xbf167918, v38
	s_delay_alu instid0(VALU_DEP_3) | instskip(SKIP_4) | instid1(VALU_DEP_4)
	v_dual_fmac_f32 v14, 0x3f167918, v19 :: v_dual_fmac_f32 v9, 0x3f167918, v36
	v_dual_fmac_f32 v8, 0xbf167918, v19 :: v_dual_fmac_f32 v15, 0xbf167918, v36
	v_dual_fmac_f32 v11, 0x3f167918, v38 :: v_dual_add_f32 v18, v18, v16
	v_dual_add_f32 v19, v31, v37 :: v_dual_fmac_f32 v12, 0x3e9e377a, v43
	v_dual_fmac_f32 v13, 0x3e9e377a, v28 :: v_dual_fmac_f32 v10, 0x3e9e377a, v43
	v_fmac_f32_e32 v15, 0x3e9e377a, v26
	s_delay_alu instid0(VALU_DEP_4)
	v_dual_fmac_f32 v14, 0x3e9e377a, v30 :: v_dual_fmac_f32 v11, 0x3e9e377a, v28
	v_fmac_f32_e32 v8, 0x3e9e377a, v30
	v_fmac_f32_e32 v9, 0x3e9e377a, v26
	ds_store_2addr_b64 v29, v[18:19], v[12:13] offset1:99
	ds_store_2addr_b64 v25, v[14:15], v[8:9] offset0:70 offset1:169
	ds_store_b64 v29, v[10:11] offset:3168
	s_and_saveexec_b32 s1, s0
	s_cbranch_execz .LBB0_17
; %bb.16:
	v_cndmask_b32_e64 v8, 0xffffffd4, 55, s0
	s_delay_alu instid0(VALU_DEP_1) | instskip(NEXT) | instid1(VALU_DEP_1)
	v_add_lshl_u32 v16, v22, v8, 2
	v_lshlrev_b64_e32 v[8:9], 3, v[16:17]
	s_delay_alu instid0(VALU_DEP_1) | instskip(SKIP_1) | instid1(VALU_DEP_2)
	v_add_co_u32 v12, s0, s4, v8
	s_wait_alu 0xf1ff
	v_add_co_ci_u32_e64 v13, s0, s5, v9, s0
	s_clause 0x1
	global_load_b128 v[8:11], v[12:13], off offset:720
	global_load_b128 v[12:15], v[12:13], off offset:704
	s_wait_loadcnt 0x1
	v_dual_mul_f32 v17, v23, v11 :: v_dual_add_nc_u32 v16, 0x400, v29
	s_wait_loadcnt 0x0
	v_dual_mul_f32 v18, v6, v9 :: v_dual_mul_f32 v19, v4, v15
	v_mul_f32_e32 v25, v2, v13
	v_mul_f32_e32 v13, v3, v13
	s_delay_alu instid0(VALU_DEP_3) | instskip(NEXT) | instid1(VALU_DEP_2)
	v_dual_fmac_f32 v18, v7, v8 :: v_dual_fmac_f32 v19, v5, v14
	v_fma_f32 v2, v2, v12, -v13
	v_mul_f32_e32 v15, v5, v15
	v_fmac_f32_e32 v17, v24, v10
	v_mul_f32_e32 v9, v7, v9
	v_fmac_f32_e32 v25, v3, v12
	s_delay_alu instid0(VALU_DEP_4) | instskip(NEXT) | instid1(VALU_DEP_4)
	v_fma_f32 v3, v4, v14, -v15
	v_sub_f32_e32 v14, v17, v18
	s_delay_alu instid0(VALU_DEP_4) | instskip(SKIP_3) | instid1(VALU_DEP_4)
	v_fma_f32 v4, v6, v8, -v9
	v_mul_f32_e32 v11, v24, v11
	v_add_f32_e32 v6, v0, v2
	v_sub_f32_e32 v28, v2, v3
	v_sub_f32_e32 v12, v3, v4
	s_delay_alu instid0(VALU_DEP_4) | instskip(SKIP_2) | instid1(VALU_DEP_3)
	v_fma_f32 v8, v23, v10, -v11
	v_add_f32_e32 v31, v3, v4
	v_dual_sub_f32 v23, v3, v2 :: v_dual_add_f32 v6, v6, v3
	v_dual_add_f32 v5, v1, v25 :: v_dual_sub_f32 v30, v8, v4
	v_add_f32_e32 v26, v2, v8
	v_dual_sub_f32 v10, v2, v8 :: v_dual_add_f32 v11, v25, v17
	v_dual_sub_f32 v24, v4, v8 :: v_dual_sub_f32 v7, v19, v25
	s_delay_alu instid0(VALU_DEP_3)
	v_fma_f32 v2, -0.5, v26, v0
	v_dual_fmac_f32 v0, -0.5, v31 :: v_dual_sub_f32 v27, v19, v18
	v_add_f32_e32 v15, v19, v18
	v_sub_f32_e32 v13, v25, v19
	v_fma_f32 v3, -0.5, v11, v1
	v_sub_f32_e32 v9, v18, v17
	s_delay_alu instid0(VALU_DEP_4) | instskip(SKIP_1) | instid1(VALU_DEP_1)
	v_fmac_f32_e32 v1, -0.5, v15
	v_add_f32_e32 v15, v6, v4
	v_dual_sub_f32 v25, v25, v17 :: v_dual_add_f32 v8, v15, v8
	s_delay_alu instid0(VALU_DEP_1) | instskip(SKIP_4) | instid1(VALU_DEP_4)
	v_fmamk_f32 v6, v25, 0xbf737871, v0
	v_fmac_f32_e32 v0, 0x3f737871, v25
	v_dual_fmamk_f32 v4, v27, 0x3f737871, v2 :: v_dual_add_f32 v11, v13, v14
	v_add_f32_e32 v14, v28, v30
	v_fmac_f32_e32 v2, 0xbf737871, v27
	v_dual_fmac_f32 v0, 0x3f167918, v27 :: v_dual_add_f32 v13, v23, v24
	s_delay_alu instid0(VALU_DEP_4) | instskip(NEXT) | instid1(VALU_DEP_3)
	v_dual_fmac_f32 v4, 0xbf167918, v25 :: v_dual_add_f32 v5, v5, v19
	v_fmac_f32_e32 v2, 0x3f167918, v25
	v_dual_add_f32 v19, v7, v9 :: v_dual_fmac_f32 v6, 0xbf167918, v27
	s_delay_alu instid0(VALU_DEP_4) | instskip(NEXT) | instid1(VALU_DEP_4)
	v_fmac_f32_e32 v0, 0x3e9e377a, v14
	v_fmac_f32_e32 v4, 0x3e9e377a, v13
	v_fmamk_f32 v7, v10, 0x3f737871, v1
	v_fmac_f32_e32 v1, 0xbf737871, v10
	v_dual_add_f32 v9, v5, v18 :: v_dual_fmac_f32 v2, 0x3e9e377a, v13
	v_fmamk_f32 v5, v12, 0xbf737871, v3
	v_fmac_f32_e32 v3, 0x3f737871, v12
	s_delay_alu instid0(VALU_DEP_4)
	v_fmac_f32_e32 v1, 0xbf167918, v12
	v_fmac_f32_e32 v7, 0x3f167918, v12
	v_add_f32_e32 v9, v9, v17
	v_fmac_f32_e32 v5, 0x3f167918, v10
	v_fmac_f32_e32 v3, 0xbf167918, v10
	;; [unrolled: 1-line block ×3, first 2 shown]
	v_dual_fmac_f32 v7, 0x3e9e377a, v11 :: v_dual_fmac_f32 v6, 0x3e9e377a, v14
	s_delay_alu instid0(VALU_DEP_4) | instskip(NEXT) | instid1(VALU_DEP_4)
	v_fmac_f32_e32 v5, 0x3e9e377a, v19
	v_fmac_f32_e32 v3, 0x3e9e377a, v19
	ds_store_2addr_b64 v29, v[8:9], v[0:1] offset0:55 offset1:154
	ds_store_2addr_b64 v16, v[2:3], v[4:5] offset0:125 offset1:224
	ds_store_b64 v29, v[6:7] offset:3608
.LBB0_17:
	s_wait_alu 0xfffe
	s_or_b32 exec_lo, exec_lo, s1
	global_wb scope:SCOPE_SE
	s_wait_dscnt 0x0
	s_barrier_signal -1
	s_barrier_wait -1
	global_inv scope:SCOPE_SE
	s_and_saveexec_b32 s0, vcc_lo
	s_cbranch_execz .LBB0_19
; %bb.18:
	v_dual_mov_b32 v23, 0 :: v_dual_add_nc_u32 v8, 0x400, v29
	v_add_nc_u32_e32 v12, 0x800, v29
	ds_load_2addr_b64 v[0:3], v29 offset1:55
	ds_load_2addr_b64 v[4:7], v29 offset0:110 offset1:165
	ds_load_2addr_b64 v[8:11], v8 offset0:92 offset1:147
	ds_load_2addr_b64 v[12:15], v12 offset0:74 offset1:129
	ds_load_b64 v[18:19], v29 offset:3520
	v_lshlrev_b64_e32 v[16:17], 3, v[22:23]
	v_add_co_u32 v20, vcc_lo, s8, v20
	s_wait_alu 0xfffd
	v_add_co_ci_u32_e32 v21, vcc_lo, s9, v21, vcc_lo
	s_delay_alu instid0(VALU_DEP_2) | instskip(SKIP_1) | instid1(VALU_DEP_2)
	v_add_co_u32 v16, vcc_lo, v20, v16
	s_wait_alu 0xfffd
	v_add_co_ci_u32_e32 v17, vcc_lo, v21, v17, vcc_lo
	s_wait_dscnt 0x4
	s_clause 0x1
	global_store_b64 v[16:17], v[0:1], off
	global_store_b64 v[16:17], v[2:3], off offset:440
	s_wait_dscnt 0x3
	s_clause 0x1
	global_store_b64 v[16:17], v[4:5], off offset:880
	global_store_b64 v[16:17], v[6:7], off offset:1320
	s_wait_dscnt 0x2
	s_clause 0x1
	global_store_b64 v[16:17], v[8:9], off offset:1760
	;; [unrolled: 4-line block ×3, first 2 shown]
	global_store_b64 v[16:17], v[14:15], off offset:3080
	s_wait_dscnt 0x0
	global_store_b64 v[16:17], v[18:19], off offset:3520
.LBB0_19:
	s_nop 0
	s_sendmsg sendmsg(MSG_DEALLOC_VGPRS)
	s_endpgm
	.section	.rodata,"a",@progbits
	.p2align	6, 0x0
	.amdhsa_kernel fft_rtc_fwd_len495_factors_11_9_5_wgs_55_tpt_55_sp_ip_CI_unitstride_sbrr_dirReg
		.amdhsa_group_segment_fixed_size 0
		.amdhsa_private_segment_fixed_size 0
		.amdhsa_kernarg_size 88
		.amdhsa_user_sgpr_count 2
		.amdhsa_user_sgpr_dispatch_ptr 0
		.amdhsa_user_sgpr_queue_ptr 0
		.amdhsa_user_sgpr_kernarg_segment_ptr 1
		.amdhsa_user_sgpr_dispatch_id 0
		.amdhsa_user_sgpr_private_segment_size 0
		.amdhsa_wavefront_size32 1
		.amdhsa_uses_dynamic_stack 0
		.amdhsa_enable_private_segment 0
		.amdhsa_system_sgpr_workgroup_id_x 1
		.amdhsa_system_sgpr_workgroup_id_y 0
		.amdhsa_system_sgpr_workgroup_id_z 0
		.amdhsa_system_sgpr_workgroup_info 0
		.amdhsa_system_vgpr_workitem_id 0
		.amdhsa_next_free_vgpr 91
		.amdhsa_next_free_sgpr 32
		.amdhsa_reserve_vcc 1
		.amdhsa_float_round_mode_32 0
		.amdhsa_float_round_mode_16_64 0
		.amdhsa_float_denorm_mode_32 3
		.amdhsa_float_denorm_mode_16_64 3
		.amdhsa_fp16_overflow 0
		.amdhsa_workgroup_processor_mode 1
		.amdhsa_memory_ordered 1
		.amdhsa_forward_progress 0
		.amdhsa_round_robin_scheduling 0
		.amdhsa_exception_fp_ieee_invalid_op 0
		.amdhsa_exception_fp_denorm_src 0
		.amdhsa_exception_fp_ieee_div_zero 0
		.amdhsa_exception_fp_ieee_overflow 0
		.amdhsa_exception_fp_ieee_underflow 0
		.amdhsa_exception_fp_ieee_inexact 0
		.amdhsa_exception_int_div_zero 0
	.end_amdhsa_kernel
	.text
.Lfunc_end0:
	.size	fft_rtc_fwd_len495_factors_11_9_5_wgs_55_tpt_55_sp_ip_CI_unitstride_sbrr_dirReg, .Lfunc_end0-fft_rtc_fwd_len495_factors_11_9_5_wgs_55_tpt_55_sp_ip_CI_unitstride_sbrr_dirReg
                                        ; -- End function
	.section	.AMDGPU.csdata,"",@progbits
; Kernel info:
; codeLenInByte = 6608
; NumSgprs: 34
; NumVgprs: 91
; ScratchSize: 0
; MemoryBound: 0
; FloatMode: 240
; IeeeMode: 1
; LDSByteSize: 0 bytes/workgroup (compile time only)
; SGPRBlocks: 4
; VGPRBlocks: 11
; NumSGPRsForWavesPerEU: 34
; NumVGPRsForWavesPerEU: 91
; Occupancy: 16
; WaveLimiterHint : 1
; COMPUTE_PGM_RSRC2:SCRATCH_EN: 0
; COMPUTE_PGM_RSRC2:USER_SGPR: 2
; COMPUTE_PGM_RSRC2:TRAP_HANDLER: 0
; COMPUTE_PGM_RSRC2:TGID_X_EN: 1
; COMPUTE_PGM_RSRC2:TGID_Y_EN: 0
; COMPUTE_PGM_RSRC2:TGID_Z_EN: 0
; COMPUTE_PGM_RSRC2:TIDIG_COMP_CNT: 0
	.text
	.p2alignl 7, 3214868480
	.fill 96, 4, 3214868480
	.type	__hip_cuid_19b3e1bf548c39b7,@object ; @__hip_cuid_19b3e1bf548c39b7
	.section	.bss,"aw",@nobits
	.globl	__hip_cuid_19b3e1bf548c39b7
__hip_cuid_19b3e1bf548c39b7:
	.byte	0                               ; 0x0
	.size	__hip_cuid_19b3e1bf548c39b7, 1

	.ident	"AMD clang version 19.0.0git (https://github.com/RadeonOpenCompute/llvm-project roc-6.4.0 25133 c7fe45cf4b819c5991fe208aaa96edf142730f1d)"
	.section	".note.GNU-stack","",@progbits
	.addrsig
	.addrsig_sym __hip_cuid_19b3e1bf548c39b7
	.amdgpu_metadata
---
amdhsa.kernels:
  - .args:
      - .actual_access:  read_only
        .address_space:  global
        .offset:         0
        .size:           8
        .value_kind:     global_buffer
      - .offset:         8
        .size:           8
        .value_kind:     by_value
      - .actual_access:  read_only
        .address_space:  global
        .offset:         16
        .size:           8
        .value_kind:     global_buffer
      - .actual_access:  read_only
        .address_space:  global
        .offset:         24
        .size:           8
        .value_kind:     global_buffer
      - .offset:         32
        .size:           8
        .value_kind:     by_value
      - .actual_access:  read_only
        .address_space:  global
        .offset:         40
        .size:           8
        .value_kind:     global_buffer
      - .actual_access:  read_only
        .address_space:  global
        .offset:         48
        .size:           8
        .value_kind:     global_buffer
      - .offset:         56
        .size:           4
        .value_kind:     by_value
      - .actual_access:  read_only
        .address_space:  global
        .offset:         64
        .size:           8
        .value_kind:     global_buffer
      - .actual_access:  read_only
        .address_space:  global
        .offset:         72
        .size:           8
        .value_kind:     global_buffer
      - .address_space:  global
        .offset:         80
        .size:           8
        .value_kind:     global_buffer
    .group_segment_fixed_size: 0
    .kernarg_segment_align: 8
    .kernarg_segment_size: 88
    .language:       OpenCL C
    .language_version:
      - 2
      - 0
    .max_flat_workgroup_size: 55
    .name:           fft_rtc_fwd_len495_factors_11_9_5_wgs_55_tpt_55_sp_ip_CI_unitstride_sbrr_dirReg
    .private_segment_fixed_size: 0
    .sgpr_count:     34
    .sgpr_spill_count: 0
    .symbol:         fft_rtc_fwd_len495_factors_11_9_5_wgs_55_tpt_55_sp_ip_CI_unitstride_sbrr_dirReg.kd
    .uniform_work_group_size: 1
    .uses_dynamic_stack: false
    .vgpr_count:     91
    .vgpr_spill_count: 0
    .wavefront_size: 32
    .workgroup_processor_mode: 1
amdhsa.target:   amdgcn-amd-amdhsa--gfx1201
amdhsa.version:
  - 1
  - 2
...

	.end_amdgpu_metadata
